;; amdgpu-corpus repo=ROCm/rocFFT kind=compiled arch=gfx906 opt=O3
	.text
	.amdgcn_target "amdgcn-amd-amdhsa--gfx906"
	.amdhsa_code_object_version 6
	.protected	fft_rtc_fwd_len75_factors_3_5_5_wgs_120_tpt_15_dim1_sp_ip_CI_sbrr_dirReg ; -- Begin function fft_rtc_fwd_len75_factors_3_5_5_wgs_120_tpt_15_dim1_sp_ip_CI_sbrr_dirReg
	.globl	fft_rtc_fwd_len75_factors_3_5_5_wgs_120_tpt_15_dim1_sp_ip_CI_sbrr_dirReg
	.p2align	8
	.type	fft_rtc_fwd_len75_factors_3_5_5_wgs_120_tpt_15_dim1_sp_ip_CI_sbrr_dirReg,@function
fft_rtc_fwd_len75_factors_3_5_5_wgs_120_tpt_15_dim1_sp_ip_CI_sbrr_dirReg: ; @fft_rtc_fwd_len75_factors_3_5_5_wgs_120_tpt_15_dim1_sp_ip_CI_sbrr_dirReg
; %bb.0:
	s_load_dwordx4 s[12:15], s[4:5], 0x10
	v_mul_u32_u24_e32 v1, 0x1112, v0
	v_lshrrev_b32_e32 v16, 16, v1
	v_lshl_add_u32 v2, s6, 3, v16
	s_load_dwordx2 s[6:7], s[4:5], 0x0
	s_waitcnt lgkmcnt(0)
	s_load_dwordx4 s[8:11], s[12:13], 0x0
	s_load_dwordx2 s[2:3], s[4:5], 0x48
	v_mov_b32_e32 v3, 0
	v_cmp_gt_u64_e32 vcc, s[14:15], v[2:3]
                                        ; implicit-def: $vgpr15
                                        ; implicit-def: $vgpr13
                                        ; implicit-def: $vgpr11
                                        ; implicit-def: $vgpr9
                                        ; implicit-def: $vgpr7
	s_waitcnt lgkmcnt(0)
	v_mad_u64_u32 v[4:5], s[0:1], s10, v2, 0
	v_mov_b32_e32 v1, v5
	v_mad_u64_u32 v[5:6], s[0:1], s11, v2, v[1:2]
	v_mul_lo_u16_e32 v6, 15, v16
	v_sub_u16_e32 v0, v0, v6
	v_lshlrev_b64 v[1:2], 3, v[4:5]
                                        ; implicit-def: $vgpr5
	s_and_saveexec_b64 s[4:5], vcc
	s_cbranch_execz .LBB0_4
; %bb.1:
	v_mad_u64_u32 v[4:5], s[0:1], s8, v0, 0
	v_add_u32_e32 v9, 25, v0
	v_mov_b32_e32 v8, s3
	v_mov_b32_e32 v3, v5
	v_mad_u64_u32 v[5:6], s[0:1], s9, v0, v[3:4]
	v_mad_u64_u32 v[6:7], s[0:1], s8, v9, 0
	v_add_co_u32_e64 v3, s[0:1], s2, v1
	v_addc_co_u32_e64 v11, s[0:1], v8, v2, s[0:1]
	v_mad_u64_u32 v[7:8], s[0:1], s9, v9, v[7:8]
	v_add_u32_e32 v10, 50, v0
	v_mad_u64_u32 v[8:9], s[0:1], s8, v10, 0
	v_lshlrev_b64 v[4:5], 3, v[4:5]
	v_add_co_u32_e64 v12, s[0:1], v3, v4
	v_addc_co_u32_e64 v13, s[0:1], v11, v5, s[0:1]
	v_lshlrev_b64 v[4:5], 3, v[6:7]
	v_mov_b32_e32 v6, v9
	v_mad_u64_u32 v[6:7], s[0:1], s9, v10, v[6:7]
	v_add_co_u32_e64 v14, s[0:1], v3, v4
	v_mov_b32_e32 v9, v6
	v_addc_co_u32_e64 v15, s[0:1], v11, v5, s[0:1]
	v_lshlrev_b64 v[4:5], 3, v[8:9]
                                        ; implicit-def: $vgpr10
	v_add_co_u32_e64 v17, s[0:1], v3, v4
	v_addc_co_u32_e64 v18, s[0:1], v11, v5, s[0:1]
	global_load_dwordx2 v[4:5], v[12:13], off
	global_load_dwordx2 v[6:7], v[14:15], off
	;; [unrolled: 1-line block ×3, first 2 shown]
	v_cmp_gt_u16_e64 s[0:1], 10, v0
                                        ; implicit-def: $vgpr12
                                        ; implicit-def: $vgpr14
	s_and_saveexec_b64 s[10:11], s[0:1]
	s_cbranch_execz .LBB0_3
; %bb.2:
	v_add_u32_e32 v17, 15, v0
	v_mad_u64_u32 v[12:13], s[0:1], s8, v17, 0
	v_add_u32_e32 v19, 40, v0
	v_mad_u64_u32 v[14:15], s[0:1], s8, v19, 0
	v_mov_b32_e32 v10, v13
	v_mad_u64_u32 v[17:18], s[0:1], s9, v17, v[10:11]
	v_mov_b32_e32 v10, v15
	v_add_u32_e32 v22, 0x41, v0
	v_mov_b32_e32 v13, v17
	v_mad_u64_u32 v[17:18], s[0:1], s9, v19, v[10:11]
	v_mad_u64_u32 v[18:19], s[0:1], s8, v22, 0
	v_lshlrev_b64 v[12:13], 3, v[12:13]
	v_mov_b32_e32 v15, v17
	v_add_co_u32_e64 v20, s[0:1], v3, v12
	v_mov_b32_e32 v10, v19
	v_addc_co_u32_e64 v21, s[0:1], v11, v13, s[0:1]
	v_lshlrev_b64 v[12:13], 3, v[14:15]
	v_mad_u64_u32 v[14:15], s[0:1], s9, v22, v[10:11]
	v_add_co_u32_e64 v22, s[0:1], v3, v12
	v_mov_b32_e32 v19, v14
	v_addc_co_u32_e64 v23, s[0:1], v11, v13, s[0:1]
	v_lshlrev_b64 v[12:13], 3, v[18:19]
	v_add_co_u32_e64 v17, s[0:1], v3, v12
	v_addc_co_u32_e64 v18, s[0:1], v11, v13, s[0:1]
	global_load_dwordx2 v[10:11], v[20:21], off
	global_load_dwordx2 v[12:13], v[22:23], off
	;; [unrolled: 1-line block ×3, first 2 shown]
.LBB0_3:
	s_or_b64 exec, exec, s[10:11]
	v_mov_b32_e32 v3, v0
.LBB0_4:
	s_or_b64 exec, exec, s[4:5]
	s_waitcnt vmcnt(0)
	v_add_f32_e32 v18, v8, v6
	v_add_f32_e32 v17, v6, v4
	v_fmac_f32_e32 v4, -0.5, v18
	v_sub_f32_e32 v18, v7, v9
	v_mov_b32_e32 v19, v4
	v_fmac_f32_e32 v19, 0x3f5db3d7, v18
	v_fmac_f32_e32 v4, 0xbf5db3d7, v18
	v_add_f32_e32 v18, v7, v5
	v_add_f32_e32 v7, v9, v7
	v_fmac_f32_e32 v5, -0.5, v7
	v_and_b32_e32 v16, 7, v16
	v_sub_f32_e32 v6, v6, v8
	v_mov_b32_e32 v20, v5
	v_mul_u32_u24_e32 v16, 0x4b, v16
	v_fmac_f32_e32 v20, 0xbf5db3d7, v6
	v_fmac_f32_e32 v5, 0x3f5db3d7, v6
	v_mad_u32_u24 v6, v0, 24, 0
	v_add_f32_e32 v17, v8, v17
	v_add_f32_e32 v18, v9, v18
	v_lshl_add_u32 v7, v16, 3, v6
	v_cmp_gt_u16_e64 s[0:1], 10, v0
	ds_write2_b64 v7, v[17:18], v[19:20] offset1:1
	ds_write_b64 v7, v[4:5] offset:16
	s_and_saveexec_b64 s[4:5], s[0:1]
	s_cbranch_execz .LBB0_6
; %bb.5:
	v_add_f32_e32 v5, v15, v13
	v_fma_f32 v5, -0.5, v5, v11
	v_sub_f32_e32 v4, v12, v14
	v_mov_b32_e32 v9, v5
	v_fmac_f32_e32 v9, 0x3f5db3d7, v4
	v_fmac_f32_e32 v5, 0xbf5db3d7, v4
	v_add_f32_e32 v4, v13, v11
	v_add_f32_e32 v11, v15, v4
	;; [unrolled: 1-line block ×3, first 2 shown]
	v_fma_f32 v4, -0.5, v4, v10
	v_sub_f32_e32 v13, v13, v15
	v_add_f32_e32 v10, v12, v10
	v_mov_b32_e32 v8, v4
	v_fmac_f32_e32 v4, 0x3f5db3d7, v13
	v_add_f32_e32 v10, v14, v10
	v_fmac_f32_e32 v8, 0xbf5db3d7, v13
	ds_write2_b64 v7, v[10:11], v[4:5] offset0:45 offset1:46
	ds_write_b64 v7, v[8:9] offset:376
.LBB0_6:
	s_or_b64 exec, exec, s[4:5]
	s_movk_i32 s0, 0xab
	v_mul_lo_u16_sdwa v4, v0, s0 dst_sel:DWORD dst_unused:UNUSED_PAD src0_sel:BYTE_0 src1_sel:DWORD
	v_lshrrev_b16_e32 v19, 9, v4
	v_mul_lo_u16_e32 v4, 3, v19
	v_sub_u16_e32 v20, v0, v4
	v_mov_b32_e32 v4, 5
	v_lshlrev_b32_sdwa v4, v4, v20 dst_sel:DWORD dst_unused:UNUSED_PAD src0_sel:DWORD src1_sel:BYTE_0
	s_waitcnt lgkmcnt(0)
	s_barrier
	global_load_dwordx4 v[7:10], v4, s[6:7]
	global_load_dwordx4 v[11:14], v4, s[6:7] offset:16
	v_lshlrev_b32_e32 v4, 4, v0
	v_lshlrev_b32_e32 v21, 3, v16
	v_sub_u32_e32 v4, v6, v4
	v_add_u32_e32 v5, v4, v21
	ds_read2_b64 v[15:18], v5 offset0:15 offset1:30
	s_movk_i32 s0, 0x78
	s_waitcnt vmcnt(1) lgkmcnt(0)
	v_mul_f32_e32 v4, v8, v16
	v_mul_f32_e32 v22, v8, v15
	;; [unrolled: 1-line block ×4, first 2 shown]
	v_fma_f32 v15, v7, v15, -v4
	v_fmac_f32_e32 v22, v7, v16
	v_fma_f32 v16, v9, v17, -v6
	v_fmac_f32_e32 v10, v9, v18
	ds_read2_b64 v[6:9], v5 offset0:45 offset1:60
	v_sub_f32_e32 v23, v16, v15
	v_sub_f32_e32 v27, v22, v10
	;; [unrolled: 1-line block ×3, first 2 shown]
	s_waitcnt vmcnt(0) lgkmcnt(0)
	v_mul_f32_e32 v4, v12, v7
	v_fma_f32 v18, v11, v6, -v4
	v_lshlrev_b32_e32 v4, 3, v0
	v_mul_f32_e32 v12, v12, v6
	v_add3_u32 v4, 0, v21, v4
	v_fmac_f32_e32 v12, v11, v7
	ds_read2_b32 v[6:7], v4 offset1:1
	v_mul_f32_e32 v17, v14, v9
	v_mul_f32_e32 v14, v14, v8
	v_fma_f32 v8, v13, v8, -v17
	v_fmac_f32_e32 v14, v13, v9
	s_waitcnt lgkmcnt(0)
	v_add_f32_e32 v9, v15, v6
	v_sub_f32_e32 v13, v15, v16
	v_add_f32_e32 v24, v15, v8
	v_sub_f32_e32 v25, v15, v8
	v_add_f32_e32 v15, v7, v22
	v_add_f32_e32 v9, v9, v16
	;; [unrolled: 1-line block ×6, first 2 shown]
	v_sub_f32_e32 v17, v8, v18
	v_sub_f32_e32 v16, v16, v18
	;; [unrolled: 1-line block ×3, first 2 shown]
	v_add_f32_e32 v8, v9, v8
	v_add_f32_e32 v9, v15, v14
	v_sub_f32_e32 v15, v10, v12
	v_add_f32_e32 v26, v10, v12
	v_sub_f32_e32 v29, v22, v14
	;; [unrolled: 2-line block ×3, first 2 shown]
	v_sub_f32_e32 v12, v12, v14
	v_fma_f32 v10, -0.5, v11, v6
	v_fma_f32 v6, -0.5, v24, v6
	;; [unrolled: 1-line block ×3, first 2 shown]
	v_fmac_f32_e32 v7, -0.5, v22
	v_add_f32_e32 v22, v28, v12
	v_mov_b32_e32 v12, v10
	v_fmac_f32_e32 v10, 0xbf737871, v29
	v_mov_b32_e32 v14, v6
	v_fmac_f32_e32 v12, 0x3f737871, v29
	v_add_f32_e32 v13, v13, v17
	v_fmac_f32_e32 v6, 0x3f737871, v15
	v_fmac_f32_e32 v10, 0xbf167918, v15
	;; [unrolled: 1-line block ×4, first 2 shown]
	v_add_f32_e32 v17, v23, v18
	v_fmac_f32_e32 v6, 0xbf167918, v29
	v_fmac_f32_e32 v14, 0x3f167918, v29
	;; [unrolled: 1-line block ×4, first 2 shown]
	v_mov_b32_e32 v13, v11
	v_fmac_f32_e32 v11, 0x3f737871, v25
	v_mov_b32_e32 v15, v7
	v_fmac_f32_e32 v13, 0xbf737871, v25
	v_fmac_f32_e32 v6, 0x3e9e377a, v17
	;; [unrolled: 1-line block ×3, first 2 shown]
	v_mov_b32_e32 v17, 3
	v_add_f32_e32 v18, v27, v30
	v_fmac_f32_e32 v11, 0x3f167918, v16
	v_fmac_f32_e32 v15, 0x3f737871, v16
	;; [unrolled: 1-line block ×4, first 2 shown]
	v_mad_u32_u24 v16, v19, s0, 0
	v_lshlrev_b32_sdwa v17, v17, v20 dst_sel:DWORD dst_unused:UNUSED_PAD src0_sel:DWORD src1_sel:BYTE_0
	v_fmac_f32_e32 v15, 0xbf167918, v25
	v_fmac_f32_e32 v13, 0x3e9e377a, v18
	;; [unrolled: 1-line block ×3, first 2 shown]
	v_add3_u32 v16, v16, v17, v21
	v_fmac_f32_e32 v11, 0x3e9e377a, v18
	v_fmac_f32_e32 v15, 0x3e9e377a, v22
	;; [unrolled: 1-line block ×3, first 2 shown]
	s_barrier
	ds_write2_b64 v16, v[8:9], v[12:13] offset1:3
	ds_write2_b64 v16, v[14:15], v[6:7] offset0:6 offset1:9
	ds_write_b64 v16, v[10:11] offset:96
	s_waitcnt lgkmcnt(0)
	s_barrier
	s_and_saveexec_b64 s[0:1], vcc
	s_cbranch_execz .LBB0_8
; %bb.7:
	v_lshlrev_b32_e32 v0, 5, v0
	global_load_dwordx4 v[6:9], v0, s[6:7] offset:96
	global_load_dwordx4 v[10:13], v0, s[6:7] offset:112
	ds_read2_b64 v[14:17], v5 offset0:15 offset1:30
	ds_read2_b64 v[18:21], v5 offset0:45 offset1:60
	v_mad_u64_u32 v[22:23], s[0:1], s8, v3, 0
	s_waitcnt vmcnt(1) lgkmcnt(1)
	v_mul_f32_e32 v25, v6, v15
	v_mul_f32_e32 v0, v7, v15
	;; [unrolled: 1-line block ×3, first 2 shown]
	v_fmac_f32_e32 v25, v7, v14
	v_fma_f32 v14, v6, v14, -v0
	v_mov_b32_e32 v0, v23
	v_fma_f32 v15, v8, v16, -v5
	v_mad_u64_u32 v[5:6], s[0:1], s9, v3, v[0:1]
	ds_read2_b32 v[6:7], v4 offset1:1
	v_mul_f32_e32 v24, v8, v17
	v_fmac_f32_e32 v24, v9, v16
	v_mov_b32_e32 v23, v5
	s_waitcnt vmcnt(0) lgkmcnt(1)
	v_mul_f32_e32 v16, v10, v19
	v_mul_f32_e32 v17, v12, v21
	;; [unrolled: 1-line block ×4, first 2 shown]
	v_fmac_f32_e32 v16, v11, v18
	v_fmac_f32_e32 v17, v13, v20
	v_fma_f32 v12, v12, v20, -v4
	v_fma_f32 v13, v10, v18, -v5
	v_add_f32_e32 v4, v25, v17
	v_add_f32_e32 v8, v24, v16
	;; [unrolled: 1-line block ×4, first 2 shown]
	v_sub_f32_e32 v10, v24, v25
	v_sub_f32_e32 v11, v16, v17
	s_waitcnt lgkmcnt(0)
	v_fma_f32 v5, -0.5, v4, v7
	v_fma_f32 v4, -0.5, v9, v6
	v_fma_f32 v9, -0.5, v8, v7
	v_fma_f32 v8, -0.5, v26, v6
	v_add_f32_e32 v7, v25, v7
	v_add_f32_e32 v6, v14, v6
	v_sub_f32_e32 v18, v14, v12
	v_sub_f32_e32 v19, v15, v13
	;; [unrolled: 1-line block ×5, first 2 shown]
	v_add_f32_e32 v27, v10, v11
	v_sub_f32_e32 v11, v14, v15
	v_add_f32_e32 v14, v24, v7
	v_add_f32_e32 v15, v15, v6
	;; [unrolled: 1-line block ×3, first 2 shown]
	v_sub_f32_e32 v21, v24, v16
	v_add_f32_e32 v14, v16, v14
	v_add_f32_e32 v15, v13, v15
	v_add_u32_e32 v16, 15, v3
	v_sub_f32_e32 v10, v13, v12
	v_sub_f32_e32 v7, v12, v13
	v_add_f32_e32 v13, v17, v14
	v_add_f32_e32 v12, v12, v15
	v_mad_u64_u32 v[14:15], s[0:1], s8, v16, 0
	v_add_f32_e32 v24, v26, v10
	v_add_f32_e32 v26, v11, v7
	v_mov_b32_e32 v7, v5
	v_fmac_f32_e32 v5, 0x3f737871, v19
	v_mov_b32_e32 v11, v9
	v_fmac_f32_e32 v7, 0xbf737871, v19
	;; [unrolled: 2-line block ×3, first 2 shown]
	v_fmac_f32_e32 v5, 0xbf167918, v18
	v_fmac_f32_e32 v11, 0x3f737871, v18
	;; [unrolled: 1-line block ×3, first 2 shown]
	v_add_co_u32_e32 v18, vcc, s2, v1
	v_fmac_f32_e32 v9, 0xbf167918, v19
	v_fmac_f32_e32 v11, 0x3f167918, v19
	v_addc_co_u32_e32 v19, vcc, v0, v2, vcc
	v_mov_b32_e32 v2, v15
	v_fmac_f32_e32 v9, 0x3e9e377a, v20
	v_fmac_f32_e32 v11, 0x3e9e377a, v20
	v_mad_u64_u32 v[15:16], s[0:1], s9, v16, v[2:3]
	v_add_u32_e32 v20, 30, v3
	v_sub_f32_e32 v25, v25, v17
	v_mad_u64_u32 v[16:17], s[0:1], s8, v20, 0
	v_lshlrev_b64 v[0:1], 3, v[22:23]
	v_mov_b32_e32 v10, v8
	v_add_co_u32_e32 v0, vcc, v18, v0
	v_addc_co_u32_e32 v1, vcc, v19, v1, vcc
	v_mov_b32_e32 v2, v17
	global_store_dwordx2 v[0:1], v[12:13], off
	v_mad_u64_u32 v[12:13], s[0:1], s9, v20, v[2:3]
	v_lshlrev_b64 v[0:1], 3, v[14:15]
	v_fmac_f32_e32 v8, 0x3f737871, v25
	v_fmac_f32_e32 v8, 0x3f167918, v21
	v_add_co_u32_e32 v0, vcc, v18, v0
	v_fmac_f32_e32 v8, 0x3e9e377a, v26
	v_addc_co_u32_e32 v1, vcc, v19, v1, vcc
	v_mov_b32_e32 v17, v12
	v_add_u32_e32 v12, 45, v3
	global_store_dwordx2 v[0:1], v[8:9], off
	v_mad_u64_u32 v[8:9], s[0:1], s8, v12, 0
	v_lshlrev_b64 v[0:1], 3, v[16:17]
	v_mov_b32_e32 v6, v4
	v_mov_b32_e32 v2, v9
	v_mad_u64_u32 v[12:13], s[0:1], s9, v12, v[2:3]
	v_add_u32_e32 v13, 60, v3
	v_mad_u64_u32 v[2:3], s[0:1], s8, v13, 0
	v_fmac_f32_e32 v4, 0xbf737871, v21
	v_fmac_f32_e32 v4, 0x3f167918, v25
	v_add_co_u32_e32 v0, vcc, v18, v0
	v_fmac_f32_e32 v5, 0x3e9e377a, v27
	v_fmac_f32_e32 v4, 0x3e9e377a, v24
	v_addc_co_u32_e32 v1, vcc, v19, v1, vcc
	v_mov_b32_e32 v9, v12
	global_store_dwordx2 v[0:1], v[4:5], off
	v_lshlrev_b64 v[0:1], 3, v[8:9]
	v_mad_u64_u32 v[3:4], s[0:1], s9, v13, v[3:4]
	v_fmac_f32_e32 v6, 0x3f737871, v21
	v_fmac_f32_e32 v6, 0xbf167918, v25
	v_add_co_u32_e32 v0, vcc, v18, v0
	v_fmac_f32_e32 v7, 0x3e9e377a, v27
	v_fmac_f32_e32 v6, 0x3e9e377a, v24
	v_addc_co_u32_e32 v1, vcc, v19, v1, vcc
	global_store_dwordx2 v[0:1], v[6:7], off
	v_lshlrev_b64 v[0:1], 3, v[2:3]
	v_fmac_f32_e32 v10, 0xbf737871, v25
	v_fmac_f32_e32 v10, 0xbf167918, v21
	v_add_co_u32_e32 v0, vcc, v18, v0
	v_fmac_f32_e32 v10, 0x3e9e377a, v26
	v_addc_co_u32_e32 v1, vcc, v19, v1, vcc
	global_store_dwordx2 v[0:1], v[10:11], off
.LBB0_8:
	s_endpgm
	.section	.rodata,"a",@progbits
	.p2align	6, 0x0
	.amdhsa_kernel fft_rtc_fwd_len75_factors_3_5_5_wgs_120_tpt_15_dim1_sp_ip_CI_sbrr_dirReg
		.amdhsa_group_segment_fixed_size 0
		.amdhsa_private_segment_fixed_size 0
		.amdhsa_kernarg_size 80
		.amdhsa_user_sgpr_count 6
		.amdhsa_user_sgpr_private_segment_buffer 1
		.amdhsa_user_sgpr_dispatch_ptr 0
		.amdhsa_user_sgpr_queue_ptr 0
		.amdhsa_user_sgpr_kernarg_segment_ptr 1
		.amdhsa_user_sgpr_dispatch_id 0
		.amdhsa_user_sgpr_flat_scratch_init 0
		.amdhsa_user_sgpr_private_segment_size 0
		.amdhsa_uses_dynamic_stack 0
		.amdhsa_system_sgpr_private_segment_wavefront_offset 0
		.amdhsa_system_sgpr_workgroup_id_x 1
		.amdhsa_system_sgpr_workgroup_id_y 0
		.amdhsa_system_sgpr_workgroup_id_z 0
		.amdhsa_system_sgpr_workgroup_info 0
		.amdhsa_system_vgpr_workitem_id 0
		.amdhsa_next_free_vgpr 31
		.amdhsa_next_free_sgpr 16
		.amdhsa_reserve_vcc 1
		.amdhsa_reserve_flat_scratch 0
		.amdhsa_float_round_mode_32 0
		.amdhsa_float_round_mode_16_64 0
		.amdhsa_float_denorm_mode_32 3
		.amdhsa_float_denorm_mode_16_64 3
		.amdhsa_dx10_clamp 1
		.amdhsa_ieee_mode 1
		.amdhsa_fp16_overflow 0
		.amdhsa_exception_fp_ieee_invalid_op 0
		.amdhsa_exception_fp_denorm_src 0
		.amdhsa_exception_fp_ieee_div_zero 0
		.amdhsa_exception_fp_ieee_overflow 0
		.amdhsa_exception_fp_ieee_underflow 0
		.amdhsa_exception_fp_ieee_inexact 0
		.amdhsa_exception_int_div_zero 0
	.end_amdhsa_kernel
	.text
.Lfunc_end0:
	.size	fft_rtc_fwd_len75_factors_3_5_5_wgs_120_tpt_15_dim1_sp_ip_CI_sbrr_dirReg, .Lfunc_end0-fft_rtc_fwd_len75_factors_3_5_5_wgs_120_tpt_15_dim1_sp_ip_CI_sbrr_dirReg
                                        ; -- End function
	.section	.AMDGPU.csdata,"",@progbits
; Kernel info:
; codeLenInByte = 2136
; NumSgprs: 20
; NumVgprs: 31
; ScratchSize: 0
; MemoryBound: 0
; FloatMode: 240
; IeeeMode: 1
; LDSByteSize: 0 bytes/workgroup (compile time only)
; SGPRBlocks: 2
; VGPRBlocks: 7
; NumSGPRsForWavesPerEU: 20
; NumVGPRsForWavesPerEU: 31
; Occupancy: 8
; WaveLimiterHint : 1
; COMPUTE_PGM_RSRC2:SCRATCH_EN: 0
; COMPUTE_PGM_RSRC2:USER_SGPR: 6
; COMPUTE_PGM_RSRC2:TRAP_HANDLER: 0
; COMPUTE_PGM_RSRC2:TGID_X_EN: 1
; COMPUTE_PGM_RSRC2:TGID_Y_EN: 0
; COMPUTE_PGM_RSRC2:TGID_Z_EN: 0
; COMPUTE_PGM_RSRC2:TIDIG_COMP_CNT: 0
	.type	__hip_cuid_7cd58660b1e9d3bd,@object ; @__hip_cuid_7cd58660b1e9d3bd
	.section	.bss,"aw",@nobits
	.globl	__hip_cuid_7cd58660b1e9d3bd
__hip_cuid_7cd58660b1e9d3bd:
	.byte	0                               ; 0x0
	.size	__hip_cuid_7cd58660b1e9d3bd, 1

	.ident	"AMD clang version 19.0.0git (https://github.com/RadeonOpenCompute/llvm-project roc-6.4.0 25133 c7fe45cf4b819c5991fe208aaa96edf142730f1d)"
	.section	".note.GNU-stack","",@progbits
	.addrsig
	.addrsig_sym __hip_cuid_7cd58660b1e9d3bd
	.amdgpu_metadata
---
amdhsa.kernels:
  - .args:
      - .actual_access:  read_only
        .address_space:  global
        .offset:         0
        .size:           8
        .value_kind:     global_buffer
      - .actual_access:  read_only
        .address_space:  global
        .offset:         8
        .size:           8
        .value_kind:     global_buffer
      - .actual_access:  read_only
        .address_space:  global
        .offset:         16
        .size:           8
        .value_kind:     global_buffer
      - .offset:         24
        .size:           8
        .value_kind:     by_value
      - .actual_access:  read_only
        .address_space:  global
        .offset:         32
        .size:           8
        .value_kind:     global_buffer
      - .actual_access:  read_only
        .address_space:  global
        .offset:         40
        .size:           8
        .value_kind:     global_buffer
      - .offset:         48
        .size:           4
        .value_kind:     by_value
      - .actual_access:  read_only
        .address_space:  global
        .offset:         56
        .size:           8
        .value_kind:     global_buffer
      - .actual_access:  read_only
        .address_space:  global
        .offset:         64
        .size:           8
        .value_kind:     global_buffer
      - .address_space:  global
        .offset:         72
        .size:           8
        .value_kind:     global_buffer
    .group_segment_fixed_size: 0
    .kernarg_segment_align: 8
    .kernarg_segment_size: 80
    .language:       OpenCL C
    .language_version:
      - 2
      - 0
    .max_flat_workgroup_size: 120
    .name:           fft_rtc_fwd_len75_factors_3_5_5_wgs_120_tpt_15_dim1_sp_ip_CI_sbrr_dirReg
    .private_segment_fixed_size: 0
    .sgpr_count:     20
    .sgpr_spill_count: 0
    .symbol:         fft_rtc_fwd_len75_factors_3_5_5_wgs_120_tpt_15_dim1_sp_ip_CI_sbrr_dirReg.kd
    .uniform_work_group_size: 1
    .uses_dynamic_stack: false
    .vgpr_count:     31
    .vgpr_spill_count: 0
    .wavefront_size: 64
amdhsa.target:   amdgcn-amd-amdhsa--gfx906
amdhsa.version:
  - 1
  - 2
...

	.end_amdgpu_metadata
